;; amdgpu-corpus repo=ROCm/rocFFT kind=compiled arch=gfx906 opt=O3
	.text
	.amdgcn_target "amdgcn-amd-amdhsa--gfx906"
	.amdhsa_code_object_version 6
	.protected	bluestein_single_fwd_len500_dim1_sp_op_CI_CI ; -- Begin function bluestein_single_fwd_len500_dim1_sp_op_CI_CI
	.globl	bluestein_single_fwd_len500_dim1_sp_op_CI_CI
	.p2align	8
	.type	bluestein_single_fwd_len500_dim1_sp_op_CI_CI,@function
bluestein_single_fwd_len500_dim1_sp_op_CI_CI: ; @bluestein_single_fwd_len500_dim1_sp_op_CI_CI
; %bb.0:
	s_load_dwordx4 s[0:3], s[4:5], 0x28
	v_mul_u32_u24_e32 v1, 0x290, v0
	v_add_u32_sdwa v46, s6, v1 dst_sel:DWORD dst_unused:UNUSED_PAD src0_sel:DWORD src1_sel:WORD_1
	v_mov_b32_e32 v47, 0
	s_waitcnt lgkmcnt(0)
	v_cmp_gt_u64_e32 vcc, s[0:1], v[46:47]
	s_and_saveexec_b64 s[0:1], vcc
	s_cbranch_execz .LBB0_23
; %bb.1:
	s_load_dwordx2 s[10:11], s[4:5], 0x0
	s_load_dwordx2 s[8:9], s[4:5], 0x38
	s_movk_i32 s0, 0x64
	v_mul_lo_u16_sdwa v1, v1, s0 dst_sel:DWORD dst_unused:UNUSED_PAD src0_sel:WORD_1 src1_sel:DWORD
	v_sub_u16_e32 v49, v0, v1
	v_cmp_gt_u16_e32 vcc, 50, v49
	v_lshlrev_b32_e32 v50, 3, v49
	s_and_saveexec_b64 s[6:7], vcc
	s_cbranch_execz .LBB0_3
; %bb.2:
	s_load_dwordx2 s[0:1], s[4:5], 0x18
	s_waitcnt lgkmcnt(0)
	s_load_dwordx4 s[12:15], s[0:1], 0x0
	s_waitcnt lgkmcnt(0)
	v_mad_u64_u32 v[0:1], s[0:1], s14, v46, 0
	v_mad_u64_u32 v[2:3], s[0:1], s12, v49, 0
	;; [unrolled: 1-line block ×4, first 2 shown]
	v_mov_b32_e32 v1, v4
	v_lshlrev_b64 v[0:1], 3, v[0:1]
	v_mov_b32_e32 v3, v5
	v_mov_b32_e32 v6, s3
	v_lshlrev_b64 v[2:3], 3, v[2:3]
	v_add_co_u32_e64 v0, s[0:1], s2, v0
	v_addc_co_u32_e64 v1, s[0:1], v6, v1, s[0:1]
	v_add_co_u32_e64 v0, s[0:1], v0, v2
	v_addc_co_u32_e64 v1, s[0:1], v1, v3, s[0:1]
	s_mul_i32 s0, s13, 0x190
	s_mul_hi_u32 s1, s12, 0x190
	s_add_i32 s2, s1, s0
	s_mul_i32 s3, s12, 0x190
	v_mov_b32_e32 v3, s2
	v_add_co_u32_e64 v2, s[0:1], s3, v0
	v_addc_co_u32_e64 v3, s[0:1], v1, v3, s[0:1]
	v_mov_b32_e32 v5, s2
	v_add_co_u32_e64 v4, s[0:1], s3, v2
	v_addc_co_u32_e64 v5, s[0:1], v3, v5, s[0:1]
	;; [unrolled: 3-line block ×3, first 2 shown]
	global_load_dwordx2 v[8:9], v50, s[10:11]
	global_load_dwordx2 v[10:11], v50, s[10:11] offset:400
	global_load_dwordx2 v[12:13], v50, s[10:11] offset:800
	;; [unrolled: 1-line block ×3, first 2 shown]
	global_load_dwordx2 v[16:17], v[0:1], off
	global_load_dwordx2 v[18:19], v[2:3], off
	;; [unrolled: 1-line block ×4, first 2 shown]
	v_mov_b32_e32 v1, s2
	v_add_co_u32_e64 v0, s[0:1], s3, v6
	v_addc_co_u32_e64 v1, s[0:1], v7, v1, s[0:1]
	global_load_dwordx2 v[2:3], v[0:1], off
	global_load_dwordx2 v[4:5], v50, s[10:11] offset:1600
	global_load_dwordx2 v[6:7], v50, s[10:11] offset:2000
	;; [unrolled: 1-line block ×5, first 2 shown]
	v_mov_b32_e32 v30, s2
	v_add_co_u32_e64 v0, s[0:1], s3, v0
	v_addc_co_u32_e64 v1, s[0:1], v1, v30, s[0:1]
	v_mov_b32_e32 v32, s2
	global_load_dwordx2 v[30:31], v[0:1], off
	v_add_co_u32_e64 v0, s[0:1], s3, v0
	v_addc_co_u32_e64 v1, s[0:1], v1, v32, s[0:1]
	v_mov_b32_e32 v34, s2
	global_load_dwordx2 v[32:33], v[0:1], off
	;; [unrolled: 4-line block ×4, first 2 shown]
	v_add_co_u32_e64 v0, s[0:1], s3, v0
	v_addc_co_u32_e64 v1, s[0:1], v1, v38, s[0:1]
	global_load_dwordx2 v[38:39], v50, s[10:11] offset:3600
	global_load_dwordx2 v[40:41], v[0:1], off
	s_waitcnt vmcnt(15)
	v_mul_f32_e32 v1, v16, v9
	v_mul_f32_e32 v0, v17, v9
	v_fma_f32 v1, v17, v8, -v1
	v_fmac_f32_e32 v0, v16, v8
	s_waitcnt vmcnt(14)
	v_mul_f32_e32 v8, v19, v11
	v_mul_f32_e32 v9, v18, v11
	v_fmac_f32_e32 v8, v18, v10
	v_fma_f32 v9, v19, v10, -v9
	ds_write2_b64 v50, v[0:1], v[8:9] offset1:50
	s_waitcnt vmcnt(12)
	v_mul_f32_e32 v0, v22, v15
	v_mul_f32_e32 v11, v20, v13
	;; [unrolled: 1-line block ×3, first 2 shown]
	v_fma_f32 v1, v23, v14, -v0
	v_mul_f32_e32 v0, v23, v15
	v_fma_f32 v11, v21, v12, -v11
	v_fmac_f32_e32 v10, v20, v12
	v_fmac_f32_e32 v0, v22, v14
	ds_write2_b64 v50, v[10:11], v[0:1] offset0:100 offset1:150
	s_waitcnt vmcnt(10)
	v_mul_f32_e32 v0, v3, v5
	v_mul_f32_e32 v1, v2, v5
	v_fmac_f32_e32 v0, v2, v4
	s_waitcnt vmcnt(5)
	v_mul_f32_e32 v2, v30, v7
	v_fma_f32 v1, v3, v4, -v1
	v_fma_f32 v3, v31, v6, -v2
	v_mul_f32_e32 v2, v31, v7
	v_fmac_f32_e32 v2, v30, v6
	ds_write2_b64 v50, v[0:1], v[2:3] offset0:200 offset1:250
	s_waitcnt vmcnt(4)
	v_mul_f32_e32 v0, v33, v25
	v_mul_f32_e32 v1, v32, v25
	s_waitcnt vmcnt(3)
	v_mul_f32_e32 v2, v35, v27
	v_mul_f32_e32 v3, v34, v27
	v_fmac_f32_e32 v0, v32, v24
	v_fma_f32 v1, v33, v24, -v1
	v_fmac_f32_e32 v2, v34, v26
	v_fma_f32 v3, v35, v26, -v3
	v_add_u32_e32 v4, 0x800, v50
	ds_write2_b64 v4, v[0:1], v[2:3] offset0:44 offset1:94
	s_waitcnt vmcnt(2)
	v_mul_f32_e32 v0, v37, v29
	v_mul_f32_e32 v1, v36, v29
	s_waitcnt vmcnt(0)
	v_mul_f32_e32 v2, v41, v39
	v_mul_f32_e32 v3, v40, v39
	v_fmac_f32_e32 v0, v36, v28
	v_fma_f32 v1, v37, v28, -v1
	v_fmac_f32_e32 v2, v40, v38
	v_fma_f32 v3, v41, v38, -v3
	ds_write2_b64 v4, v[0:1], v[2:3] offset0:144 offset1:194
.LBB0_3:
	s_or_b64 exec, exec, s[6:7]
	s_load_dwordx2 s[0:1], s[4:5], 0x20
	s_load_dwordx2 s[2:3], s[4:5], 0x8
	s_waitcnt lgkmcnt(0)
	s_barrier
	s_waitcnt lgkmcnt(0)
                                        ; implicit-def: $vgpr0
                                        ; implicit-def: $vgpr4
                                        ; implicit-def: $vgpr16
                                        ; implicit-def: $vgpr8
                                        ; implicit-def: $vgpr12
	s_and_saveexec_b64 s[4:5], vcc
	s_cbranch_execz .LBB0_5
; %bb.4:
	ds_read2_b64 v[0:3], v50 offset1:50
	ds_read2_b64 v[4:7], v50 offset0:100 offset1:150
	ds_read2_b64 v[16:19], v50 offset0:200 offset1:250
	v_add_u32_e32 v12, 0x800, v50
	ds_read2_b64 v[8:11], v12 offset0:44 offset1:94
	ds_read2_b64 v[12:15], v12 offset0:144 offset1:194
.LBB0_5:
	s_or_b64 exec, exec, s[4:5]
	s_waitcnt lgkmcnt(3)
	v_add_f32_e32 v20, v0, v4
	v_add_f32_e32 v24, v1, v5
	v_add_f32_e32 v25, v2, v6
	v_add_f32_e32 v26, v3, v7
	s_waitcnt lgkmcnt(2)
	v_add_f32_e32 v20, v20, v16
	s_waitcnt lgkmcnt(1)
	v_add_f32_e32 v21, v16, v8
	v_add_f32_e32 v24, v24, v17
	v_add_f32_e32 v25, v25, v18
	v_add_f32_e32 v26, v26, v19
	v_sub_f32_e32 v22, v17, v9
	v_sub_f32_e32 v23, v4, v16
	v_sub_f32_e32 v27, v16, v4
	v_add_f32_e32 v28, v17, v9
	v_sub_f32_e32 v29, v5, v17
	v_sub_f32_e32 v17, v17, v5
	v_sub_f32_e32 v31, v19, v11
	v_add_f32_e32 v34, v19, v11
	v_sub_f32_e32 v35, v7, v19
	v_sub_f32_e32 v19, v19, v7
	s_waitcnt lgkmcnt(0)
	v_sub_f32_e32 v36, v5, v13
	v_add_f32_e32 v37, v4, v12
	v_sub_f32_e32 v38, v4, v12
	v_add_f32_e32 v39, v5, v13
	v_sub_f32_e32 v40, v7, v15
	v_add_f32_e32 v43, v7, v15
	v_add_f32_e32 v4, v20, v8
	v_add_f32_e32 v5, v24, v9
	;; [unrolled: 1-line block ×4, first 2 shown]
	v_sub_f32_e32 v26, v13, v9
	v_sub_f32_e32 v44, v9, v13
	v_fma_f32 v9, -0.5, v21, v0
	v_sub_f32_e32 v32, v6, v18
	v_sub_f32_e32 v33, v18, v6
	v_add_f32_e32 v41, v6, v14
	v_sub_f32_e32 v42, v6, v14
	v_add_f32_e32 v6, v5, v13
	v_add_f32_e32 v5, v7, v14
	v_mov_b32_e32 v7, v9
	v_sub_f32_e32 v24, v12, v8
	v_fmac_f32_e32 v7, 0x3f737871, v36
	v_fmac_f32_e32 v9, 0xbf737871, v36
	v_add_f32_e32 v30, v18, v10
	v_sub_f32_e32 v18, v18, v10
	v_sub_f32_e32 v45, v14, v10
	;; [unrolled: 1-line block ×3, first 2 shown]
	v_add_f32_e32 v10, v23, v24
	v_fmac_f32_e32 v7, 0x3f167918, v22
	v_fmac_f32_e32 v9, 0xbf167918, v22
	v_fmac_f32_e32 v0, -0.5, v37
	v_fmac_f32_e32 v7, 0x3e9e377a, v10
	v_fmac_f32_e32 v9, 0x3e9e377a, v10
	v_mov_b32_e32 v10, v0
	v_sub_f32_e32 v25, v8, v12
	v_fmac_f32_e32 v10, 0xbf737871, v22
	v_fmac_f32_e32 v0, 0x3f737871, v22
	v_sub_f32_e32 v48, v15, v11
	v_sub_f32_e32 v51, v11, v15
	v_add_f32_e32 v4, v4, v12
	v_add_f32_e32 v11, v27, v25
	v_fmac_f32_e32 v10, 0x3f167918, v36
	v_fmac_f32_e32 v0, 0xbf167918, v36
	v_fma_f32 v12, -0.5, v28, v1
	v_fmac_f32_e32 v10, 0x3e9e377a, v11
	v_fmac_f32_e32 v0, 0x3e9e377a, v11
	v_mov_b32_e32 v11, v12
	v_sub_f32_e32 v16, v16, v8
	v_fmac_f32_e32 v11, 0xbf737871, v38
	v_fmac_f32_e32 v12, 0x3f737871, v38
	v_add_f32_e32 v13, v29, v26
	v_fmac_f32_e32 v11, 0xbf167918, v16
	v_fmac_f32_e32 v12, 0x3f167918, v16
	v_fmac_f32_e32 v1, -0.5, v39
	v_add_f32_e32 v8, v20, v15
	v_fmac_f32_e32 v11, 0x3e9e377a, v13
	v_fmac_f32_e32 v12, 0x3e9e377a, v13
	v_mov_b32_e32 v13, v1
	v_fma_f32 v20, -0.5, v30, v2
	v_fmac_f32_e32 v13, 0x3f737871, v16
	v_fmac_f32_e32 v1, 0xbf737871, v16
	v_mov_b32_e32 v21, v20
	v_fmac_f32_e32 v2, -0.5, v41
	v_add_f32_e32 v14, v17, v44
	v_fmac_f32_e32 v13, 0xbf167918, v38
	v_fmac_f32_e32 v1, 0x3f167918, v38
	;; [unrolled: 1-line block ×4, first 2 shown]
	v_mov_b32_e32 v22, v2
	v_fma_f32 v23, -0.5, v34, v3
	v_fmac_f32_e32 v13, 0x3e9e377a, v14
	v_fmac_f32_e32 v1, 0x3e9e377a, v14
	v_add_f32_e32 v14, v32, v45
	v_fmac_f32_e32 v21, 0x3f167918, v31
	v_fmac_f32_e32 v20, 0xbf167918, v31
	v_fmac_f32_e32 v22, 0xbf737871, v31
	v_fmac_f32_e32 v2, 0x3f737871, v31
	v_mov_b32_e32 v24, v23
	v_fmac_f32_e32 v21, 0x3e9e377a, v14
	v_fmac_f32_e32 v20, 0x3e9e377a, v14
	v_add_f32_e32 v14, v33, v47
	v_fmac_f32_e32 v22, 0x3f167918, v40
	v_fmac_f32_e32 v2, 0xbf167918, v40
	;; [unrolled: 1-line block ×4, first 2 shown]
	v_fmac_f32_e32 v3, -0.5, v43
	v_fmac_f32_e32 v22, 0x3e9e377a, v14
	v_fmac_f32_e32 v2, 0x3e9e377a, v14
	v_fmac_f32_e32 v24, 0xbf167918, v18
	v_add_f32_e32 v14, v35, v48
	v_fmac_f32_e32 v23, 0x3f167918, v18
	v_mov_b32_e32 v25, v3
	v_fmac_f32_e32 v3, 0xbf737871, v18
	v_fmac_f32_e32 v24, 0x3e9e377a, v14
	;; [unrolled: 1-line block ×4, first 2 shown]
	v_add_f32_e32 v14, v19, v51
	v_fmac_f32_e32 v3, 0x3f167918, v42
	s_mov_b32 s4, 0x3f737871
	v_fmac_f32_e32 v25, 0xbf167918, v42
	v_fmac_f32_e32 v3, 0x3e9e377a, v14
	v_mul_f32_e32 v16, 0x3e9e377a, v2
	s_mov_b32 s6, 0xbf737871
	v_fmac_f32_e32 v25, 0x3e9e377a, v14
	v_fma_f32 v16, v3, s4, -v16
	v_mul_f32_e32 v3, 0x3e9e377a, v3
	s_mov_b32 s5, 0x3f167918
	s_mov_b32 s7, 0xbf167918
	v_mul_f32_e32 v14, 0x3f4f1bbd, v21
	v_mul_f32_e32 v15, 0x3f737871, v25
	;; [unrolled: 1-line block ×5, first 2 shown]
	v_fma_f32 v2, v2, s6, -v3
	v_mul_f32_e32 v3, 0x3f4f1bbd, v23
	v_fmac_f32_e32 v14, 0x3f167918, v24
	v_fmac_f32_e32 v15, 0x3e9e377a, v22
	v_fma_f32 v17, v23, s5, -v17
	v_fmac_f32_e32 v18, 0x3f4f1bbd, v24
	v_fmac_f32_e32 v19, 0x3e9e377a, v25
	v_fma_f32 v3, v20, s7, -v3
	v_sub_f32_e32 v32, v7, v14
	v_sub_f32_e32 v34, v10, v15
	;; [unrolled: 1-line block ×10, first 2 shown]
	v_mul_lo_u16_e32 v51, 10, v49
	s_barrier
	s_and_saveexec_b64 s[4:5], vcc
	s_cbranch_execz .LBB0_7
; %bb.6:
	v_add_f32_e32 v37, v12, v3
	v_add_f32_e32 v3, v1, v2
	;; [unrolled: 1-line block ×9, first 2 shown]
	v_lshlrev_b32_e32 v4, 3, v51
	v_add_f32_e32 v36, v9, v17
	ds_write_b128 v4, v[10:13]
	ds_write_b128 v4, v[0:3] offset:16
	ds_write_b128 v4, v[36:39] offset:32
	;; [unrolled: 1-line block ×4, first 2 shown]
.LBB0_7:
	s_or_b64 exec, exec, s[4:5]
	s_load_dwordx4 s[4:7], s[0:1], 0x0
	s_movk_i32 s0, 0xcd
	v_mul_lo_u16_sdwa v0, v49, s0 dst_sel:DWORD dst_unused:UNUSED_PAD src0_sel:BYTE_0 src1_sel:DWORD
	v_lshrrev_b16_e32 v18, 11, v0
	v_mul_lo_u16_e32 v0, 10, v18
	v_sub_u16_e32 v0, v49, v0
	v_and_b32_e32 v19, 0xff, v0
	v_lshlrev_b32_e32 v8, 5, v19
	s_waitcnt lgkmcnt(0)
	s_barrier
	global_load_dwordx4 v[4:7], v8, s[2:3]
	global_load_dwordx4 v[0:3], v8, s[2:3] offset:16
	v_add_u32_e32 v12, 0x400, v50
	ds_read2_b64 v[8:11], v50 offset1:100
	ds_read_b64 v[16:17], v50 offset:3200
	ds_read2_b64 v[12:15], v12 offset0:72 offset1:172
	s_waitcnt vmcnt(0) lgkmcnt(0)
	s_barrier
	v_mul_f32_e32 v20, v11, v5
	v_mul_f32_e32 v21, v10, v5
	;; [unrolled: 1-line block ×8, first 2 shown]
	v_fma_f32 v10, v10, v4, -v20
	v_fmac_f32_e32 v21, v11, v4
	v_fma_f32 v11, v12, v6, -v22
	v_fmac_f32_e32 v23, v13, v6
	;; [unrolled: 2-line block ×4, first 2 shown]
	v_add_f32_e32 v15, v11, v12
	v_add_f32_e32 v22, v10, v13
	;; [unrolled: 1-line block ×5, first 2 shown]
	v_sub_f32_e32 v20, v10, v11
	v_sub_f32_e32 v27, v13, v12
	v_add_f32_e32 v40, v9, v21
	v_sub_f32_e32 v41, v11, v10
	v_sub_f32_e32 v45, v12, v13
	v_fma_f32 v36, -0.5, v15, v8
	v_fma_f32 v37, -0.5, v24, v9
	;; [unrolled: 1-line block ×4, first 2 shown]
	v_sub_f32_e32 v16, v21, v44
	v_sub_f32_e32 v17, v23, v25
	;; [unrolled: 1-line block ×4, first 2 shown]
	v_add_f32_e32 v8, v14, v11
	v_add_f32_e32 v9, v20, v27
	;; [unrolled: 1-line block ×4, first 2 shown]
	v_mov_b32_e32 v26, v36
	v_mov_b32_e32 v40, v42
	;; [unrolled: 1-line block ×4, first 2 shown]
	v_sub_f32_e32 v48, v21, v23
	v_sub_f32_e32 v52, v44, v25
	;; [unrolled: 1-line block ×4, first 2 shown]
	v_add_f32_e32 v8, v8, v12
	v_fmac_f32_e32 v36, 0xbf737871, v16
	v_fmac_f32_e32 v42, 0x3f737871, v17
	;; [unrolled: 1-line block ×8, first 2 shown]
	v_add_f32_e32 v15, v48, v52
	v_add_f32_e32 v20, v21, v53
	;; [unrolled: 1-line block ×4, first 2 shown]
	v_fmac_f32_e32 v36, 0xbf167918, v17
	v_fmac_f32_e32 v42, 0xbf167918, v16
	;; [unrolled: 1-line block ×8, first 2 shown]
	v_mul_u32_u24_e32 v8, 50, v18
	v_add_f32_e32 v25, v12, v44
	v_fmac_f32_e32 v36, 0x3e9e377a, v9
	v_fmac_f32_e32 v42, 0x3e9e377a, v11
	;; [unrolled: 1-line block ×8, first 2 shown]
	v_add_lshl_u32 v52, v8, v19, 3
	ds_write2_b64 v52, v[24:25], v[26:27] offset1:10
	ds_write2_b64 v52, v[40:41], v[42:43] offset0:20 offset1:30
	ds_write_b64 v52, v[36:37] offset:320
	s_waitcnt lgkmcnt(0)
	s_barrier
	s_and_saveexec_b64 s[0:1], vcc
	s_cbranch_execz .LBB0_9
; %bb.8:
	ds_read2_b64 v[24:27], v50 offset1:50
	ds_read2_b64 v[40:43], v50 offset0:100 offset1:150
	ds_read2_b64 v[36:39], v50 offset0:200 offset1:250
	v_add_u32_e32 v8, 0x800, v50
	ds_read2_b64 v[32:35], v8 offset0:44 offset1:94
	ds_read2_b64 v[28:31], v8 offset0:144 offset1:194
.LBB0_9:
	s_or_b64 exec, exec, s[0:1]
	v_subrev_u32_e32 v8, 50, v49
	v_cndmask_b32_e32 v8, v8, v49, vcc
	v_mul_hi_i32_i24_e32 v9, 0x48, v8
	v_mul_i32_i24_e32 v8, 0x48, v8
	v_add_co_u32_e64 v47, s[0:1], s2, v8
	v_mov_b32_e32 v8, s3
	v_addc_co_u32_e64 v48, s[0:1], v8, v9, s[0:1]
	global_load_dwordx4 v[8:11], v[47:48], off offset:368
	global_load_dwordx4 v[12:15], v[47:48], off offset:352
	;; [unrolled: 1-line block ×4, first 2 shown]
	s_mov_b32 s2, 0x3f737871
	global_load_dwordx2 v[47:48], v[47:48], off offset:384
	s_mov_b32 s3, 0x3f167918
	s_mov_b32 s1, 0xbf737871
	;; [unrolled: 1-line block ×3, first 2 shown]
	s_waitcnt vmcnt(3) lgkmcnt(1)
	v_mul_f32_e32 v55, v32, v15
	v_fmac_f32_e32 v55, v33, v14
	s_waitcnt vmcnt(1)
	v_mul_f32_e32 v44, v27, v17
	v_fma_f32 v44, v26, v16, -v44
	v_mul_f32_e32 v45, v26, v17
	v_mul_f32_e32 v26, v41, v19
	v_fma_f32 v53, v40, v18, -v26
	v_mul_f32_e32 v26, v43, v21
	;; [unrolled: 3-line block ×3, first 2 shown]
	v_mul_f32_e32 v42, v36, v23
	v_fmac_f32_e32 v45, v27, v16
	v_mul_f32_e32 v27, v37, v23
	v_fmac_f32_e32 v42, v37, v22
	;; [unrolled: 2-line block ×3, first 2 shown]
	v_fma_f32 v43, v32, v14, -v37
	v_mul_f32_e32 v32, v35, v9
	v_fma_f32 v33, v34, v8, -v32
	v_mul_f32_e32 v32, v34, v9
	s_waitcnt lgkmcnt(0)
	v_mul_f32_e32 v34, v29, v11
	v_fma_f32 v34, v28, v10, -v34
	v_mul_f32_e32 v28, v28, v11
	v_fmac_f32_e32 v28, v29, v10
	s_waitcnt vmcnt(0)
	v_mul_f32_e32 v29, v31, v48
	v_fma_f32 v29, v30, v47, -v29
	v_mul_f32_e32 v30, v30, v48
	v_fmac_f32_e32 v54, v41, v18
	v_fma_f32 v41, v36, v22, -v27
	v_fmac_f32_e32 v30, v31, v47
	v_add_f32_e32 v31, v24, v53
	v_add_f32_e32 v31, v31, v41
	v_mul_f32_e32 v27, v39, v13
	v_add_f32_e32 v31, v31, v43
	v_fma_f32 v36, v38, v12, -v27
	v_mul_f32_e32 v27, v38, v13
	v_add_f32_e32 v38, v31, v34
	v_add_f32_e32 v31, v41, v43
	v_fma_f32 v37, -0.5, v31, v24
	v_fmac_f32_e32 v27, v39, v12
	v_sub_f32_e32 v31, v54, v28
	v_mov_b32_e32 v39, v37
	v_fmac_f32_e32 v32, v35, v8
	v_fmac_f32_e32 v39, 0x3f737871, v31
	v_sub_f32_e32 v35, v42, v55
	v_sub_f32_e32 v56, v53, v41
	;; [unrolled: 1-line block ×3, first 2 shown]
	v_fmac_f32_e32 v37, 0xbf737871, v31
	v_fmac_f32_e32 v39, 0x3f167918, v35
	v_add_f32_e32 v56, v56, v57
	v_fmac_f32_e32 v37, 0xbf167918, v35
	v_fmac_f32_e32 v39, 0x3e9e377a, v56
	;; [unrolled: 1-line block ×3, first 2 shown]
	v_add_f32_e32 v56, v53, v34
	v_fmac_f32_e32 v24, -0.5, v56
	v_mov_b32_e32 v56, v24
	v_fmac_f32_e32 v56, 0xbf737871, v35
	v_fmac_f32_e32 v24, 0x3f737871, v35
	;; [unrolled: 1-line block ×4, first 2 shown]
	v_add_f32_e32 v31, v25, v54
	v_sub_f32_e32 v57, v41, v53
	v_sub_f32_e32 v58, v43, v34
	v_add_f32_e32 v31, v31, v42
	v_add_f32_e32 v57, v57, v58
	v_add_f32_e32 v31, v31, v55
	v_fmac_f32_e32 v56, 0x3e9e377a, v57
	v_fmac_f32_e32 v24, 0x3e9e377a, v57
	v_add_f32_e32 v57, v31, v28
	v_add_f32_e32 v31, v42, v55
	v_fma_f32 v58, -0.5, v31, v25
	v_sub_f32_e32 v31, v53, v34
	v_mov_b32_e32 v53, v58
	v_fmac_f32_e32 v53, 0xbf737871, v31
	v_sub_f32_e32 v34, v41, v43
	v_sub_f32_e32 v35, v54, v42
	;; [unrolled: 1-line block ×3, first 2 shown]
	v_fmac_f32_e32 v58, 0x3f737871, v31
	v_fmac_f32_e32 v53, 0xbf167918, v34
	v_add_f32_e32 v35, v35, v41
	v_fmac_f32_e32 v58, 0x3f167918, v34
	v_fmac_f32_e32 v53, 0x3e9e377a, v35
	;; [unrolled: 1-line block ×3, first 2 shown]
	v_add_f32_e32 v35, v54, v28
	v_fmac_f32_e32 v25, -0.5, v35
	v_mov_b32_e32 v41, v25
	v_fmac_f32_e32 v41, 0x3f737871, v34
	v_sub_f32_e32 v35, v42, v54
	v_sub_f32_e32 v28, v55, v28
	v_fmac_f32_e32 v25, 0xbf737871, v34
	v_fmac_f32_e32 v41, 0xbf167918, v31
	v_add_f32_e32 v28, v35, v28
	v_fmac_f32_e32 v25, 0x3f167918, v31
	v_fmac_f32_e32 v41, 0x3e9e377a, v28
	;; [unrolled: 1-line block ×3, first 2 shown]
	v_add_f32_e32 v28, v44, v40
	v_add_f32_e32 v28, v28, v36
	;; [unrolled: 1-line block ×5, first 2 shown]
	v_fma_f32 v35, -0.5, v28, v44
	v_sub_f32_e32 v28, v26, v30
	v_mov_b32_e32 v31, v35
	v_fmac_f32_e32 v31, 0x3f737871, v28
	v_sub_f32_e32 v34, v27, v32
	v_sub_f32_e32 v43, v40, v36
	;; [unrolled: 1-line block ×3, first 2 shown]
	v_fmac_f32_e32 v35, 0xbf737871, v28
	v_fmac_f32_e32 v31, 0x3f167918, v34
	v_add_f32_e32 v43, v43, v54
	v_fmac_f32_e32 v35, 0xbf167918, v34
	v_fmac_f32_e32 v31, 0x3e9e377a, v43
	v_fmac_f32_e32 v35, 0x3e9e377a, v43
	v_add_f32_e32 v43, v40, v29
	v_fmac_f32_e32 v44, -0.5, v43
	v_mov_b32_e32 v43, v44
	v_fmac_f32_e32 v43, 0xbf737871, v34
	v_fmac_f32_e32 v44, 0x3f737871, v34
	;; [unrolled: 1-line block ×4, first 2 shown]
	v_add_f32_e32 v28, v45, v26
	v_sub_f32_e32 v54, v36, v40
	v_sub_f32_e32 v55, v33, v29
	v_add_f32_e32 v28, v28, v27
	v_add_f32_e32 v54, v54, v55
	;; [unrolled: 1-line block ×3, first 2 shown]
	v_fmac_f32_e32 v43, 0x3e9e377a, v54
	v_fmac_f32_e32 v44, 0x3e9e377a, v54
	v_add_f32_e32 v54, v28, v30
	v_add_f32_e32 v28, v27, v32
	v_fma_f32 v55, -0.5, v28, v45
	v_sub_f32_e32 v28, v40, v29
	v_mov_b32_e32 v29, v55
	v_fmac_f32_e32 v29, 0xbf737871, v28
	v_sub_f32_e32 v33, v36, v33
	v_sub_f32_e32 v34, v26, v27
	;; [unrolled: 1-line block ×3, first 2 shown]
	v_fmac_f32_e32 v55, 0x3f737871, v28
	v_fmac_f32_e32 v29, 0xbf167918, v33
	v_add_f32_e32 v34, v34, v36
	v_fmac_f32_e32 v55, 0x3f167918, v33
	v_fmac_f32_e32 v29, 0x3e9e377a, v34
	;; [unrolled: 1-line block ×3, first 2 shown]
	v_add_f32_e32 v34, v26, v30
	v_fmac_f32_e32 v45, -0.5, v34
	v_mov_b32_e32 v36, v45
	v_fmac_f32_e32 v36, 0x3f737871, v33
	v_sub_f32_e32 v26, v27, v26
	v_sub_f32_e32 v27, v32, v30
	v_fmac_f32_e32 v36, 0xbf167918, v28
	v_add_f32_e32 v26, v26, v27
	v_fmac_f32_e32 v36, 0x3e9e377a, v26
	v_fmac_f32_e32 v45, 0xbf737871, v33
	;; [unrolled: 1-line block ×3, first 2 shown]
	v_mul_f32_e32 v59, 0x3f737871, v36
	v_fmac_f32_e32 v45, 0x3e9e377a, v26
	v_fmac_f32_e32 v59, 0x3e9e377a, v43
	v_mul_f32_e32 v27, 0x3e9e377a, v44
	v_mul_f32_e32 v43, 0xbf737871, v43
	v_mul_f32_e32 v40, 0x3f167918, v29
	v_fma_f32 v60, v45, s2, -v27
	v_mul_f32_e32 v27, 0x3f4f1bbd, v35
	v_mul_f32_e32 v62, 0xbf167918, v31
	v_fmac_f32_e32 v43, 0x3e9e377a, v36
	v_mul_f32_e32 v33, 0x3e9e377a, v45
	v_mul_f32_e32 v36, 0x3f4f1bbd, v55
	v_fmac_f32_e32 v40, 0x3f4f1bbd, v31
	v_fma_f32 v61, v55, s3, -v27
	v_fmac_f32_e32 v62, 0x3f4f1bbd, v29
	v_fma_f32 v45, v44, s1, -v33
	v_fma_f32 v55, v35, s0, -v36
	v_add_f32_e32 v26, v38, v42
	v_add_f32_e32 v28, v39, v40
	;; [unrolled: 1-line block ×10, first 2 shown]
	v_sub_f32_e32 v36, v38, v42
	v_sub_f32_e32 v38, v39, v40
	;; [unrolled: 1-line block ×10, first 2 shown]
	s_and_saveexec_b64 s[0:1], vcc
	s_cbranch_execz .LBB0_11
; %bb.10:
	v_add_u32_e32 v24, 0x800, v50
	ds_write2_b64 v50, v[26:27], v[28:29] offset1:50
	ds_write2_b64 v50, v[30:31], v[32:33] offset0:100 offset1:150
	ds_write2_b64 v50, v[34:35], v[36:37] offset0:200 offset1:250
	ds_write2_b64 v24, v[38:39], v[40:41] offset0:44 offset1:94
	ds_write2_b64 v24, v[42:43], v[44:45] offset0:144 offset1:194
.LBB0_11:
	s_or_b64 exec, exec, s[0:1]
	s_waitcnt lgkmcnt(0)
	s_barrier
	s_and_saveexec_b64 s[0:1], vcc
	s_cbranch_execz .LBB0_13
; %bb.12:
	ds_read_b64 v[24:25], v50
	global_load_dwordx2 v[53:54], v50, s[10:11] offset:4000
	s_add_u32 s2, s10, 0xfa0
	s_addc_u32 s3, s11, 0
	s_waitcnt vmcnt(0) lgkmcnt(0)
	v_mul_f32_e32 v55, v25, v54
	v_mul_f32_e32 v56, v24, v54
	v_fma_f32 v55, v24, v53, -v55
	v_fmac_f32_e32 v56, v25, v53
	ds_read_b64 v[24:25], v50 offset:400
	global_load_dwordx2 v[53:54], v50, s[2:3] offset:400
	ds_write_b64 v50, v[55:56]
	s_waitcnt vmcnt(0) lgkmcnt(1)
	v_mul_f32_e32 v55, v25, v54
	v_mul_f32_e32 v56, v24, v54
	v_fma_f32 v55, v24, v53, -v55
	v_fmac_f32_e32 v56, v25, v53
	ds_read_b64 v[24:25], v50 offset:800
	global_load_dwordx2 v[53:54], v50, s[2:3] offset:800
	ds_write_b64 v50, v[55:56] offset:400
	s_waitcnt vmcnt(0) lgkmcnt(1)
	v_mul_f32_e32 v55, v25, v54
	v_mul_f32_e32 v56, v24, v54
	v_fma_f32 v55, v24, v53, -v55
	v_fmac_f32_e32 v56, v25, v53
	ds_read_b64 v[24:25], v50 offset:1200
	global_load_dwordx2 v[53:54], v50, s[2:3] offset:1200
	ds_write_b64 v50, v[55:56] offset:800
	;; [unrolled: 8-line block ×8, first 2 shown]
	s_waitcnt vmcnt(0) lgkmcnt(1)
	v_mul_f32_e32 v55, v25, v54
	v_mul_f32_e32 v56, v24, v54
	v_fma_f32 v55, v24, v53, -v55
	v_fmac_f32_e32 v56, v25, v53
	ds_write_b64 v50, v[55:56] offset:3600
.LBB0_13:
	s_or_b64 exec, exec, s[0:1]
	s_waitcnt lgkmcnt(0)
	s_barrier
	s_and_saveexec_b64 s[0:1], vcc
	s_cbranch_execz .LBB0_15
; %bb.14:
	ds_read2_b64 v[26:29], v50 offset1:50
	ds_read2_b64 v[30:33], v50 offset0:100 offset1:150
	ds_read2_b64 v[34:37], v50 offset0:200 offset1:250
	v_add_u32_e32 v24, 0x800, v50
	ds_read2_b64 v[38:41], v24 offset0:44 offset1:94
	ds_read2_b64 v[42:45], v24 offset0:144 offset1:194
.LBB0_15:
	s_or_b64 exec, exec, s[0:1]
	s_waitcnt lgkmcnt(1)
	v_add_f32_e32 v25, v34, v38
	v_fma_f32 v53, -0.5, v25, v26
	s_waitcnt lgkmcnt(0)
	v_sub_f32_e32 v55, v31, v43
	v_mov_b32_e32 v25, v53
	v_fmac_f32_e32 v25, 0xbf737871, v55
	v_sub_f32_e32 v56, v35, v39
	v_sub_f32_e32 v54, v30, v34
	;; [unrolled: 1-line block ×3, first 2 shown]
	v_fmac_f32_e32 v53, 0x3f737871, v55
	v_fmac_f32_e32 v25, 0xbf167918, v56
	v_add_f32_e32 v54, v54, v57
	v_fmac_f32_e32 v53, 0x3f167918, v56
	v_fmac_f32_e32 v25, 0x3e9e377a, v54
	;; [unrolled: 1-line block ×3, first 2 shown]
	v_add_f32_e32 v54, v30, v42
	v_add_f32_e32 v24, v26, v30
	v_fmac_f32_e32 v26, -0.5, v54
	v_mov_b32_e32 v54, v26
	v_add_f32_e32 v24, v24, v34
	v_fmac_f32_e32 v54, 0x3f737871, v56
	v_fmac_f32_e32 v26, 0xbf737871, v56
	v_add_f32_e32 v56, v35, v39
	v_add_f32_e32 v24, v24, v38
	v_sub_f32_e32 v57, v34, v30
	v_sub_f32_e32 v58, v38, v42
	v_fma_f32 v56, -0.5, v56, v27
	v_add_f32_e32 v24, v24, v42
	v_fmac_f32_e32 v54, 0xbf167918, v55
	v_add_f32_e32 v57, v57, v58
	v_fmac_f32_e32 v26, 0x3f167918, v55
	v_sub_f32_e32 v30, v30, v42
	v_mov_b32_e32 v42, v56
	v_fmac_f32_e32 v54, 0x3e9e377a, v57
	v_fmac_f32_e32 v26, 0x3e9e377a, v57
	;; [unrolled: 1-line block ×3, first 2 shown]
	v_sub_f32_e32 v34, v34, v38
	v_sub_f32_e32 v38, v31, v35
	;; [unrolled: 1-line block ×3, first 2 shown]
	v_fmac_f32_e32 v56, 0xbf737871, v30
	v_fmac_f32_e32 v42, 0x3f167918, v34
	v_add_f32_e32 v38, v38, v57
	v_fmac_f32_e32 v56, 0xbf167918, v34
	v_fmac_f32_e32 v42, 0x3e9e377a, v38
	;; [unrolled: 1-line block ×3, first 2 shown]
	v_add_f32_e32 v38, v31, v43
	v_add_f32_e32 v55, v27, v31
	v_fmac_f32_e32 v27, -0.5, v38
	v_mov_b32_e32 v57, v27
	v_fmac_f32_e32 v57, 0xbf737871, v34
	v_fmac_f32_e32 v27, 0x3f737871, v34
	;; [unrolled: 1-line block ×4, first 2 shown]
	v_add_f32_e32 v30, v28, v32
	v_add_f32_e32 v30, v30, v36
	;; [unrolled: 1-line block ×5, first 2 shown]
	v_sub_f32_e32 v31, v35, v31
	v_sub_f32_e32 v35, v39, v43
	v_add_f32_e32 v39, v30, v44
	v_add_f32_e32 v30, v36, v40
	;; [unrolled: 1-line block ×3, first 2 shown]
	v_fma_f32 v30, -0.5, v30, v28
	v_fmac_f32_e32 v57, 0x3e9e377a, v31
	v_fmac_f32_e32 v27, 0x3e9e377a, v31
	v_sub_f32_e32 v31, v33, v45
	v_mov_b32_e32 v34, v30
	v_add_f32_e32 v55, v55, v43
	v_fmac_f32_e32 v34, 0xbf737871, v31
	v_sub_f32_e32 v35, v37, v41
	v_sub_f32_e32 v38, v32, v36
	;; [unrolled: 1-line block ×3, first 2 shown]
	v_fmac_f32_e32 v30, 0x3f737871, v31
	v_fmac_f32_e32 v34, 0xbf167918, v35
	v_add_f32_e32 v38, v38, v43
	v_fmac_f32_e32 v30, 0x3f167918, v35
	v_fmac_f32_e32 v34, 0x3e9e377a, v38
	;; [unrolled: 1-line block ×3, first 2 shown]
	v_add_f32_e32 v38, v32, v44
	v_fmac_f32_e32 v28, -0.5, v38
	v_mov_b32_e32 v38, v28
	v_fmac_f32_e32 v38, 0x3f737871, v35
	v_fmac_f32_e32 v28, 0xbf737871, v35
	v_fmac_f32_e32 v38, 0xbf167918, v31
	v_fmac_f32_e32 v28, 0x3f167918, v31
	v_add_f32_e32 v31, v29, v33
	v_sub_f32_e32 v43, v36, v32
	v_sub_f32_e32 v58, v40, v44
	v_add_f32_e32 v31, v31, v37
	v_add_f32_e32 v43, v43, v58
	;; [unrolled: 1-line block ×3, first 2 shown]
	v_fmac_f32_e32 v38, 0x3e9e377a, v43
	v_fmac_f32_e32 v28, 0x3e9e377a, v43
	v_add_f32_e32 v43, v31, v45
	v_add_f32_e32 v31, v37, v41
	v_fma_f32 v31, -0.5, v31, v29
	v_sub_f32_e32 v32, v32, v44
	v_mov_b32_e32 v35, v31
	v_fmac_f32_e32 v35, 0x3f737871, v32
	v_sub_f32_e32 v36, v36, v40
	v_sub_f32_e32 v40, v33, v37
	;; [unrolled: 1-line block ×3, first 2 shown]
	v_fmac_f32_e32 v31, 0xbf737871, v32
	v_fmac_f32_e32 v35, 0x3f167918, v36
	v_add_f32_e32 v40, v40, v44
	v_fmac_f32_e32 v31, 0xbf167918, v36
	v_fmac_f32_e32 v35, 0x3e9e377a, v40
	;; [unrolled: 1-line block ×3, first 2 shown]
	v_add_f32_e32 v40, v33, v45
	v_fmac_f32_e32 v29, -0.5, v40
	v_mov_b32_e32 v59, v29
	v_sub_f32_e32 v33, v37, v33
	v_sub_f32_e32 v37, v41, v45
	v_fmac_f32_e32 v29, 0x3f737871, v36
	v_fmac_f32_e32 v59, 0xbf737871, v36
	v_add_f32_e32 v33, v33, v37
	v_fmac_f32_e32 v29, 0xbf167918, v32
	v_fmac_f32_e32 v59, 0x3f167918, v32
	;; [unrolled: 1-line block ×4, first 2 shown]
	v_mul_f32_e32 v44, 0xbf737871, v29
	v_mul_f32_e32 v60, 0xbe9e377a, v29
	;; [unrolled: 1-line block ×4, first 2 shown]
	v_fmac_f32_e32 v44, 0xbe9e377a, v28
	v_mul_f32_e32 v45, 0xbf167918, v31
	v_mul_f32_e32 v58, 0x3f167918, v34
	;; [unrolled: 1-line block ×3, first 2 shown]
	v_fmac_f32_e32 v60, 0x3f737871, v28
	v_mul_f32_e32 v28, 0xbf4f1bbd, v31
	v_fmac_f32_e32 v40, 0x3f4f1bbd, v34
	v_fmac_f32_e32 v41, 0x3e9e377a, v38
	;; [unrolled: 1-line block ×6, first 2 shown]
	v_sub_f32_e32 v29, v24, v39
	v_sub_f32_e32 v31, v25, v40
	;; [unrolled: 1-line block ×10, first 2 shown]
	s_barrier
	s_and_saveexec_b64 s[0:1], vcc
	s_cbranch_execz .LBB0_17
; %bb.16:
	v_add_f32_e32 v28, v56, v28
	v_add_f32_e32 v59, v57, v59
	;; [unrolled: 1-line block ×7, first 2 shown]
	v_lshlrev_b32_e32 v24, 3, v51
	v_add_f32_e32 v61, v27, v60
	v_add_f32_e32 v27, v53, v45
	;; [unrolled: 1-line block ×3, first 2 shown]
	ds_write_b128 v24, v[54:57]
	ds_write_b128 v24, v[58:61] offset:16
	ds_write_b128 v24, v[27:30] offset:32
	;; [unrolled: 1-line block ×4, first 2 shown]
.LBB0_17:
	s_or_b64 exec, exec, s[0:1]
	s_waitcnt lgkmcnt(0)
	s_barrier
	ds_read2_b64 v[24:27], v50 offset1:100
	v_add_u32_e32 v28, 0x400, v50
	ds_read2_b64 v[39:42], v28 offset0:72 offset1:172
	ds_read_b64 v[43:44], v50 offset:3200
	s_waitcnt lgkmcnt(0)
	s_barrier
	v_mul_f32_e32 v45, v5, v27
	v_mul_f32_e32 v5, v5, v26
	v_fmac_f32_e32 v45, v4, v26
	v_fma_f32 v26, v4, v27, -v5
	v_mul_f32_e32 v5, v7, v40
	v_mul_f32_e32 v4, v7, v39
	;; [unrolled: 1-line block ×3, first 2 shown]
	v_fmac_f32_e32 v5, v6, v39
	v_fmac_f32_e32 v7, v0, v41
	v_mul_f32_e32 v1, v1, v41
	v_fma_f32 v39, v6, v40, -v4
	v_fma_f32 v40, v0, v42, -v1
	v_mul_f32_e32 v0, v3, v43
	v_add_f32_e32 v1, v5, v7
	v_mul_f32_e32 v41, v3, v44
	v_fma_f32 v42, v2, v44, -v0
	v_fma_f32 v27, -0.5, v1, v24
	v_fmac_f32_e32 v41, v2, v43
	v_sub_f32_e32 v1, v26, v42
	v_mov_b32_e32 v2, v27
	v_fmac_f32_e32 v2, 0xbf737871, v1
	v_sub_f32_e32 v3, v39, v40
	v_sub_f32_e32 v4, v45, v5
	;; [unrolled: 1-line block ×3, first 2 shown]
	v_fmac_f32_e32 v27, 0x3f737871, v1
	v_fmac_f32_e32 v2, 0xbf167918, v3
	v_add_f32_e32 v4, v4, v6
	v_fmac_f32_e32 v27, 0x3f167918, v3
	v_fmac_f32_e32 v2, 0x3e9e377a, v4
	;; [unrolled: 1-line block ×3, first 2 shown]
	v_add_f32_e32 v4, v45, v41
	v_fma_f32 v6, -0.5, v4, v24
	v_mov_b32_e32 v4, v6
	v_add_f32_e32 v0, v24, v45
	v_fmac_f32_e32 v4, 0x3f737871, v3
	v_sub_f32_e32 v24, v5, v45
	v_sub_f32_e32 v28, v7, v41
	v_fmac_f32_e32 v6, 0xbf737871, v3
	v_add_f32_e32 v3, v39, v40
	v_add_f32_e32 v0, v0, v5
	v_fmac_f32_e32 v4, 0xbf167918, v1
	v_add_f32_e32 v24, v24, v28
	v_fmac_f32_e32 v6, 0x3f167918, v1
	v_fma_f32 v28, -0.5, v3, v25
	v_add_f32_e32 v0, v0, v7
	v_fmac_f32_e32 v4, 0x3e9e377a, v24
	v_fmac_f32_e32 v6, 0x3e9e377a, v24
	v_sub_f32_e32 v24, v45, v41
	v_mov_b32_e32 v3, v28
	v_add_f32_e32 v0, v0, v41
	v_fmac_f32_e32 v3, 0x3f737871, v24
	v_sub_f32_e32 v41, v5, v7
	v_sub_f32_e32 v5, v26, v39
	;; [unrolled: 1-line block ×3, first 2 shown]
	v_fmac_f32_e32 v28, 0xbf737871, v24
	v_fmac_f32_e32 v3, 0x3f167918, v41
	v_add_f32_e32 v5, v5, v7
	v_fmac_f32_e32 v28, 0xbf167918, v41
	v_fmac_f32_e32 v3, 0x3e9e377a, v5
	;; [unrolled: 1-line block ×3, first 2 shown]
	v_add_f32_e32 v5, v26, v42
	v_fma_f32 v7, -0.5, v5, v25
	v_add_f32_e32 v1, v25, v26
	v_mov_b32_e32 v5, v7
	v_add_f32_e32 v1, v1, v39
	v_fmac_f32_e32 v5, 0xbf737871, v41
	v_sub_f32_e32 v25, v39, v26
	v_sub_f32_e32 v26, v40, v42
	v_fmac_f32_e32 v7, 0x3f737871, v41
	v_add_f32_e32 v1, v1, v40
	v_fmac_f32_e32 v5, 0x3f167918, v24
	v_add_f32_e32 v25, v25, v26
	;; [unrolled: 2-line block ×3, first 2 shown]
	v_fmac_f32_e32 v5, 0x3e9e377a, v25
	v_fmac_f32_e32 v7, 0x3e9e377a, v25
	ds_write2_b64 v52, v[0:1], v[2:3] offset1:10
	ds_write2_b64 v52, v[4:5], v[6:7] offset0:20 offset1:30
	ds_write_b64 v52, v[27:28] offset:320
	s_waitcnt lgkmcnt(0)
	s_barrier
	s_and_saveexec_b64 s[0:1], vcc
	s_cbranch_execz .LBB0_19
; %bb.18:
	ds_read2_b64 v[0:3], v50 offset1:50
	ds_read2_b64 v[4:7], v50 offset0:100 offset1:150
	ds_read2_b64 v[27:30], v50 offset0:200 offset1:250
	v_add_u32_e32 v24, 0x800, v50
	ds_read2_b64 v[31:34], v24 offset0:44 offset1:94
	ds_read2_b64 v[35:38], v24 offset0:144 offset1:194
.LBB0_19:
	s_or_b64 exec, exec, s[0:1]
	s_and_saveexec_b64 s[0:1], vcc
	s_cbranch_execz .LBB0_21
; %bb.20:
	s_waitcnt lgkmcnt(2)
	v_mul_f32_e32 v25, v23, v27
	s_waitcnt lgkmcnt(1)
	v_mul_f32_e32 v40, v15, v31
	v_mul_f32_e32 v23, v23, v28
	;; [unrolled: 1-line block ×3, first 2 shown]
	v_fma_f32 v25, v22, v28, -v25
	v_fma_f32 v40, v14, v32, -v40
	v_fmac_f32_e32 v23, v22, v27
	v_fmac_f32_e32 v15, v14, v31
	v_mul_f32_e32 v14, v21, v7
	v_mul_f32_e32 v22, v13, v30
	s_waitcnt lgkmcnt(0)
	v_mul_f32_e32 v27, v48, v38
	v_mul_f32_e32 v28, v9, v34
	;; [unrolled: 1-line block ×4, first 2 shown]
	v_fmac_f32_e32 v14, v20, v6
	v_fmac_f32_e32 v22, v12, v29
	;; [unrolled: 1-line block ×5, first 2 shown]
	v_sub_f32_e32 v4, v14, v22
	v_sub_f32_e32 v31, v27, v28
	v_mul_f32_e32 v32, v17, v3
	v_mul_f32_e32 v39, v11, v35
	v_mul_f32_e32 v11, v11, v36
	v_add_f32_e32 v31, v4, v31
	v_fmac_f32_e32 v32, v16, v2
	v_add_f32_e32 v4, v22, v28
	v_fmac_f32_e32 v11, v10, v35
	v_fma_f32 v35, -0.5, v4, v32
	v_mul_f32_e32 v4, v21, v6
	v_fma_f32 v7, v20, v7, -v4
	v_mul_f32_e32 v4, v48, v37
	v_fma_f32 v20, v47, v38, -v4
	;; [unrolled: 2-line block ×4, first 2 shown]
	v_fma_f32 v24, v18, v5, -v24
	v_fma_f32 v39, v10, v36, -v39
	v_sub_f32_e32 v4, v7, v12
	v_sub_f32_e32 v6, v20, v9
	v_add_f32_e32 v13, v4, v6
	v_sub_f32_e32 v4, v25, v24
	v_sub_f32_e32 v6, v40, v39
	v_add_f32_e32 v6, v4, v6
	v_add_f32_e32 v4, v24, v39
	v_fma_f32 v34, -0.5, v4, v1
	v_sub_f32_e32 v4, v22, v14
	v_sub_f32_e32 v38, v28, v27
	v_add_f32_e32 v38, v4, v38
	v_add_f32_e32 v4, v14, v27
	v_sub_f32_e32 v26, v24, v25
	v_sub_f32_e32 v41, v39, v40
	v_mul_f32_e32 v2, v17, v2
	v_fma_f32 v42, -0.5, v4, v32
	v_sub_f32_e32 v4, v12, v7
	v_sub_f32_e32 v44, v9, v20
	v_add_f32_e32 v26, v26, v41
	v_add_f32_e32 v41, v25, v40
	v_fma_f32 v3, v16, v3, -v2
	v_add_f32_e32 v44, v4, v44
	v_add_f32_e32 v4, v7, v20
	v_fma_f32 v41, -0.5, v41, v1
	v_add_f32_e32 v2, v12, v9
	v_fma_f32 v45, -0.5, v4, v3
	v_add_f32_e32 v1, v1, v24
	v_fma_f32 v16, -0.5, v2, v3
	v_sub_f32_e32 v30, v22, v28
	v_mov_b32_e32 v47, v45
	v_add_f32_e32 v1, v1, v25
	v_sub_f32_e32 v17, v14, v27
	v_mov_b32_e32 v29, v16
	v_fmac_f32_e32 v47, 0x3f737871, v30
	v_fmac_f32_e32 v45, 0xbf737871, v30
	v_add_f32_e32 v1, v1, v40
	v_fmac_f32_e32 v29, 0xbf737871, v17
	v_fmac_f32_e32 v47, 0xbf167918, v17
	v_fmac_f32_e32 v45, 0x3f167918, v17
	v_fmac_f32_e32 v16, 0x3f737871, v17
	v_add_f32_e32 v17, v1, v39
	v_add_f32_e32 v1, v3, v7
	;; [unrolled: 1-line block ×3, first 2 shown]
	v_sub_f32_e32 v10, v23, v15
	v_mov_b32_e32 v37, v34
	v_add_f32_e32 v1, v1, v9
	v_sub_f32_e32 v5, v19, v11
	v_mov_b32_e32 v18, v41
	v_sub_f32_e32 v21, v7, v20
	v_fmac_f32_e32 v37, 0x3f737871, v10
	v_fmac_f32_e32 v34, 0xbf737871, v10
	v_add_f32_e32 v20, v1, v20
	v_sub_f32_e32 v1, v19, v23
	v_sub_f32_e32 v3, v11, v15
	v_fmac_f32_e32 v18, 0xbf737871, v5
	v_fmac_f32_e32 v37, 0xbf167918, v5
	;; [unrolled: 1-line block ×4, first 2 shown]
	v_add_f32_e32 v7, v1, v3
	v_sub_f32_e32 v3, v23, v19
	v_sub_f32_e32 v5, v15, v11
	v_fmac_f32_e32 v18, 0xbf167918, v10
	v_sub_f32_e32 v8, v12, v9
	v_fmac_f32_e32 v29, 0xbf167918, v30
	v_mov_b32_e32 v43, v42
	v_fmac_f32_e32 v41, 0x3f167918, v10
	v_add_f32_e32 v5, v3, v5
	v_add_f32_e32 v3, v19, v11
	v_fmac_f32_e32 v18, 0x3e9e377a, v26
	v_mov_b32_e32 v36, v35
	v_fmac_f32_e32 v29, 0x3e9e377a, v13
	v_fmac_f32_e32 v43, 0xbf737871, v8
	;; [unrolled: 1-line block ×4, first 2 shown]
	v_add_f32_e32 v1, v23, v15
	v_fma_f32 v26, -0.5, v3, v0
	v_fmac_f32_e32 v36, 0x3f737871, v21
	v_mul_f32_e32 v33, 0xbf4f1bbd, v29
	v_fmac_f32_e32 v43, 0x3f167918, v21
	v_fmac_f32_e32 v42, 0xbf167918, v21
	;; [unrolled: 1-line block ×3, first 2 shown]
	v_fma_f32 v21, -0.5, v1, v0
	v_sub_f32_e32 v12, v25, v40
	v_mul_f32_e32 v25, 0xbf167918, v29
	v_mov_b32_e32 v29, v26
	v_sub_f32_e32 v9, v24, v39
	v_mov_b32_e32 v24, v21
	v_fmac_f32_e32 v29, 0xbf737871, v12
	v_fmac_f32_e32 v26, 0x3f737871, v12
	;; [unrolled: 1-line block ×8, first 2 shown]
	v_add_f32_e32 v0, v0, v19
	v_add_f32_e32 v9, v32, v14
	v_fmac_f32_e32 v36, 0x3e9e377a, v31
	v_fmac_f32_e32 v45, 0x3e9e377a, v44
	;; [unrolled: 1-line block ×4, first 2 shown]
	v_add_f32_e32 v0, v0, v23
	v_add_f32_e32 v9, v9, v22
	v_fmac_f32_e32 v33, 0x3f167918, v36
	v_fmac_f32_e32 v43, 0x3e9e377a, v38
	v_fmac_f32_e32 v47, 0x3e9e377a, v44
	v_fmac_f32_e32 v42, 0x3e9e377a, v38
	v_mul_f32_e32 v38, 0x3e9e377a, v45
	v_fmac_f32_e32 v35, 0x3e9e377a, v31
	v_mul_f32_e32 v13, 0x3f4f1bbd, v16
	v_fmac_f32_e32 v25, 0xbf4f1bbd, v36
	v_mul_f32_e32 v31, 0xbf737871, v45
	v_fmac_f32_e32 v21, 0xbf167918, v12
	v_mul_f32_e32 v36, 0xbf167918, v16
	v_add_f32_e32 v0, v0, v15
	v_add_f32_e32 v9, v9, v28
	v_mul_f32_e32 v48, 0xbe9e377a, v47
	v_fmac_f32_e32 v34, 0x3e9e377a, v6
	v_fmac_f32_e32 v38, 0x3f737871, v42
	;; [unrolled: 1-line block ×4, first 2 shown]
	v_mul_f32_e32 v30, 0xbf737871, v47
	v_fmac_f32_e32 v26, 0x3e9e377a, v5
	v_fmac_f32_e32 v31, 0x3e9e377a, v42
	v_fmac_f32_e32 v21, 0x3e9e377a, v7
	v_fmac_f32_e32 v36, 0x3f4f1bbd, v35
	v_add_f32_e32 v0, v0, v11
	v_add_f32_e32 v19, v9, v27
	v_sub_f32_e32 v2, v18, v33
	v_fmac_f32_e32 v37, 0x3e9e377a, v6
	v_fmac_f32_e32 v48, 0x3f737871, v43
	v_sub_f32_e32 v6, v34, v38
	v_sub_f32_e32 v8, v41, v13
	;; [unrolled: 1-line block ×3, first 2 shown]
	v_fmac_f32_e32 v24, 0x3e9e377a, v7
	v_fmac_f32_e32 v29, 0x3e9e377a, v5
	;; [unrolled: 1-line block ×3, first 2 shown]
	v_sub_f32_e32 v5, v26, v31
	v_sub_f32_e32 v7, v21, v36
	;; [unrolled: 1-line block ×3, first 2 shown]
	v_add_f32_e32 v12, v18, v33
	v_add_f32_e32 v18, v41, v13
	;; [unrolled: 1-line block ×5, first 2 shown]
	v_add_u32_e32 v0, 0x800, v50
	v_sub_f32_e32 v4, v37, v48
	v_sub_f32_e32 v1, v24, v25
	v_sub_f32_e32 v3, v29, v30
	v_add_f32_e32 v14, v37, v48
	v_add_f32_e32 v16, v34, v38
	;; [unrolled: 1-line block ×5, first 2 shown]
	ds_write2_b64 v50, v[19:20], v[17:18] offset1:50
	ds_write2_b64 v50, v[15:16], v[13:14] offset0:100 offset1:150
	ds_write2_b64 v50, v[11:12], v[9:10] offset0:200 offset1:250
	ds_write2_b64 v0, v[7:8], v[5:6] offset0:44 offset1:94
	ds_write2_b64 v0, v[3:4], v[1:2] offset0:144 offset1:194
.LBB0_21:
	s_or_b64 exec, exec, s[0:1]
	s_waitcnt lgkmcnt(0)
	s_barrier
	s_and_b64 exec, exec, vcc
	s_cbranch_execz .LBB0_23
; %bb.22:
	global_load_dwordx2 v[12:13], v50, s[10:11]
	global_load_dwordx2 v[14:15], v50, s[10:11] offset:400
	global_load_dwordx2 v[16:17], v50, s[10:11] offset:800
	;; [unrolled: 1-line block ×3, first 2 shown]
	ds_read2_b64 v[0:3], v50 offset1:100
	ds_read2_b64 v[4:7], v50 offset0:50 offset1:150
	global_load_dwordx2 v[24:25], v50, s[10:11] offset:1600
	global_load_dwordx2 v[26:27], v50, s[10:11] offset:2000
	ds_read_b64 v[28:29], v50 offset:3200
	ds_read_b64 v[30:31], v50 offset:3600
	global_load_dwordx2 v[32:33], v50, s[10:11] offset:2400
	global_load_dwordx2 v[34:35], v50, s[10:11] offset:2800
	;; [unrolled: 1-line block ×4, first 2 shown]
	v_mad_u64_u32 v[20:21], s[0:1], s6, v46, 0
	v_mad_u64_u32 v[22:23], s[2:3], s4, v49, 0
	s_mul_i32 s3, s5, 0x190
	s_mul_hi_u32 s6, s4, 0x190
	s_add_i32 s3, s6, s3
	v_mad_u64_u32 v[40:41], s[6:7], s7, v46, v[21:22]
	s_mul_i32 s2, s4, 0x190
	v_mov_b32_e32 v43, s9
	v_mov_b32_e32 v21, v40
	v_lshlrev_b64 v[20:21], 3, v[20:21]
	v_mov_b32_e32 v45, s3
	v_add_co_u32_e32 v20, vcc, s8, v20
	v_addc_co_u32_e32 v21, vcc, v43, v21, vcc
	s_mov_b32 s0, 0xd2f1a9fc
	s_mov_b32 s1, 0x3f60624d
	v_add_u32_e32 v44, 0x400, v50
	ds_read2_b64 v[8:11], v44 offset0:72 offset1:172
	v_mov_b32_e32 v46, s3
	s_waitcnt vmcnt(8) lgkmcnt(3)
	v_mul_f32_e32 v43, v5, v15
	v_mul_f32_e32 v15, v4, v15
	s_waitcnt vmcnt(6)
	v_mul_f32_e32 v47, v7, v19
	v_mul_f32_e32 v19, v6, v19
	s_waitcnt vmcnt(5)
	v_mad_u64_u32 v[41:42], s[4:5], s5, v49, v[23:24]
	v_mov_b32_e32 v42, s3
	v_fmac_f32_e32 v43, v4, v14
	v_mov_b32_e32 v23, v41
	v_lshlrev_b64 v[22:23], 3, v[22:23]
	v_fmac_f32_e32 v47, v6, v18
	v_add_co_u32_e32 v20, vcc, v20, v22
	v_addc_co_u32_e32 v21, vcc, v21, v23, vcc
	v_add_co_u32_e32 v22, vcc, s2, v20
	v_addc_co_u32_e32 v23, vcc, v21, v45, vcc
	;; [unrolled: 2-line block ×3, first 2 shown]
	v_mul_f32_e32 v42, v1, v13
	v_mul_f32_e32 v13, v0, v13
	;; [unrolled: 1-line block ×4, first 2 shown]
	v_fmac_f32_e32 v42, v0, v12
	v_fma_f32 v12, v12, v1, -v13
	v_fma_f32 v13, v14, v5, -v15
	v_fmac_f32_e32 v45, v2, v16
	v_fma_f32 v14, v16, v3, -v17
	v_cvt_f64_f32_e32 v[0:1], v42
	v_cvt_f64_f32_e32 v[2:3], v12
	v_fma_f32 v18, v18, v7, -v19
	v_cvt_f64_f32_e32 v[4:5], v43
	v_cvt_f64_f32_e32 v[6:7], v13
	v_cvt_f64_f32_e32 v[12:13], v45
	v_cvt_f64_f32_e32 v[14:15], v14
	v_mul_f64 v[0:1], v[0:1], s[0:1]
	v_mul_f64 v[2:3], v[2:3], s[0:1]
	;; [unrolled: 1-line block ×6, first 2 shown]
	v_cvt_f64_f32_e32 v[16:17], v47
	v_cvt_f64_f32_e32 v[18:19], v18
	v_cvt_f32_f64_e32 v0, v[0:1]
	v_cvt_f32_f64_e32 v1, v[2:3]
	v_mul_f64 v[16:17], v[16:17], s[0:1]
	v_mul_f64 v[18:19], v[18:19], s[0:1]
	v_cvt_f32_f64_e32 v2, v[4:5]
	v_cvt_f32_f64_e32 v3, v[6:7]
	;; [unrolled: 1-line block ×4, first 2 shown]
	global_store_dwordx2 v[20:21], v[0:1], off
	global_store_dwordx2 v[22:23], v[2:3], off
	;; [unrolled: 1-line block ×3, first 2 shown]
	s_waitcnt lgkmcnt(0)
	v_mul_f32_e32 v0, v9, v25
	v_fmac_f32_e32 v0, v8, v24
	v_cvt_f64_f32_e32 v[4:5], v0
	v_mul_f32_e32 v0, v8, v25
	v_fma_f32 v0, v24, v9, -v0
	v_cvt_f32_f64_e32 v6, v[16:17]
	v_cvt_f32_f64_e32 v7, v[18:19]
	v_cvt_f64_f32_e32 v[8:9], v0
	ds_read2_b64 v[0:3], v44 offset0:122 offset1:222
	v_add_co_u32_e32 v12, vcc, s2, v40
	v_addc_co_u32_e32 v13, vcc, v41, v46, vcc
	global_store_dwordx2 v[12:13], v[6:7], off
	v_mul_f64 v[4:5], v[4:5], s[0:1]
	v_mul_f64 v[6:7], v[8:9], s[0:1]
	s_waitcnt vmcnt(8) lgkmcnt(0)
	v_mul_f32_e32 v8, v1, v27
	v_fmac_f32_e32 v8, v0, v26
	v_mul_f32_e32 v0, v0, v27
	v_fma_f32 v0, v26, v1, -v0
	v_cvt_f64_f32_e32 v[8:9], v8
	v_cvt_f64_f32_e32 v[0:1], v0
	v_cvt_f32_f64_e32 v4, v[4:5]
	v_cvt_f32_f64_e32 v5, v[6:7]
	v_mul_f64 v[6:7], v[8:9], s[0:1]
	v_mul_f64 v[0:1], v[0:1], s[0:1]
	v_mov_b32_e32 v9, s3
	v_add_co_u32_e32 v8, vcc, s2, v12
	v_addc_co_u32_e32 v9, vcc, v13, v9, vcc
	global_store_dwordx2 v[8:9], v[4:5], off
	v_cvt_f32_f64_e32 v4, v[6:7]
	v_cvt_f32_f64_e32 v5, v[0:1]
	s_waitcnt vmcnt(8)
	v_mul_f32_e32 v0, v11, v33
	v_mul_f32_e32 v6, v10, v33
	v_fmac_f32_e32 v0, v10, v32
	v_fma_f32 v6, v32, v11, -v6
	v_cvt_f64_f32_e32 v[0:1], v0
	v_cvt_f64_f32_e32 v[6:7], v6
	v_mov_b32_e32 v12, s3
	v_add_co_u32_e32 v8, vcc, s2, v8
	v_addc_co_u32_e32 v9, vcc, v9, v12, vcc
	global_store_dwordx2 v[8:9], v[4:5], off
	v_mul_f64 v[0:1], v[0:1], s[0:1]
	v_mul_f64 v[4:5], v[6:7], s[0:1]
	s_waitcnt vmcnt(8)
	v_mul_f32_e32 v6, v3, v35
	v_fmac_f32_e32 v6, v2, v34
	v_mul_f32_e32 v2, v2, v35
	v_fma_f32 v2, v34, v3, -v2
	v_cvt_f64_f32_e32 v[6:7], v6
	v_cvt_f64_f32_e32 v[2:3], v2
	v_cvt_f32_f64_e32 v0, v[0:1]
	v_cvt_f32_f64_e32 v1, v[4:5]
	v_mul_f64 v[4:5], v[6:7], s[0:1]
	v_mul_f64 v[2:3], v[2:3], s[0:1]
	v_mov_b32_e32 v7, s3
	v_add_co_u32_e32 v6, vcc, s2, v8
	v_addc_co_u32_e32 v7, vcc, v9, v7, vcc
	global_store_dwordx2 v[6:7], v[0:1], off
	v_cvt_f32_f64_e32 v0, v[4:5]
	v_cvt_f32_f64_e32 v1, v[2:3]
	s_waitcnt vmcnt(8)
	v_mul_f32_e32 v2, v29, v37
	v_mul_f32_e32 v4, v28, v37
	v_fmac_f32_e32 v2, v28, v36
	v_fma_f32 v4, v36, v29, -v4
	v_cvt_f64_f32_e32 v[2:3], v2
	v_cvt_f64_f32_e32 v[4:5], v4
	v_mov_b32_e32 v8, s3
	v_add_co_u32_e32 v6, vcc, s2, v6
	v_addc_co_u32_e32 v7, vcc, v7, v8, vcc
	global_store_dwordx2 v[6:7], v[0:1], off
	v_mul_f64 v[0:1], v[2:3], s[0:1]
	v_mul_f64 v[2:3], v[4:5], s[0:1]
	s_waitcnt vmcnt(8)
	v_mul_f32_e32 v4, v31, v39
	v_mul_f32_e32 v8, v30, v39
	v_fmac_f32_e32 v4, v30, v38
	v_fma_f32 v8, v38, v31, -v8
	v_cvt_f64_f32_e32 v[4:5], v4
	v_cvt_f64_f32_e32 v[8:9], v8
	v_cvt_f32_f64_e32 v0, v[0:1]
	v_cvt_f32_f64_e32 v1, v[2:3]
	v_mul_f64 v[2:3], v[4:5], s[0:1]
	v_mul_f64 v[4:5], v[8:9], s[0:1]
	v_mov_b32_e32 v8, s3
	v_add_co_u32_e32 v6, vcc, s2, v6
	v_addc_co_u32_e32 v7, vcc, v7, v8, vcc
	global_store_dwordx2 v[6:7], v[0:1], off
	v_cvt_f32_f64_e32 v0, v[2:3]
	v_cvt_f32_f64_e32 v1, v[4:5]
	v_mov_b32_e32 v3, s3
	v_add_co_u32_e32 v2, vcc, s2, v6
	v_addc_co_u32_e32 v3, vcc, v7, v3, vcc
	global_store_dwordx2 v[2:3], v[0:1], off
.LBB0_23:
	s_endpgm
	.section	.rodata,"a",@progbits
	.p2align	6, 0x0
	.amdhsa_kernel bluestein_single_fwd_len500_dim1_sp_op_CI_CI
		.amdhsa_group_segment_fixed_size 4000
		.amdhsa_private_segment_fixed_size 0
		.amdhsa_kernarg_size 104
		.amdhsa_user_sgpr_count 6
		.amdhsa_user_sgpr_private_segment_buffer 1
		.amdhsa_user_sgpr_dispatch_ptr 0
		.amdhsa_user_sgpr_queue_ptr 0
		.amdhsa_user_sgpr_kernarg_segment_ptr 1
		.amdhsa_user_sgpr_dispatch_id 0
		.amdhsa_user_sgpr_flat_scratch_init 0
		.amdhsa_user_sgpr_private_segment_size 0
		.amdhsa_uses_dynamic_stack 0
		.amdhsa_system_sgpr_private_segment_wavefront_offset 0
		.amdhsa_system_sgpr_workgroup_id_x 1
		.amdhsa_system_sgpr_workgroup_id_y 0
		.amdhsa_system_sgpr_workgroup_id_z 0
		.amdhsa_system_sgpr_workgroup_info 0
		.amdhsa_system_vgpr_workitem_id 0
		.amdhsa_next_free_vgpr 63
		.amdhsa_next_free_sgpr 16
		.amdhsa_reserve_vcc 1
		.amdhsa_reserve_flat_scratch 0
		.amdhsa_float_round_mode_32 0
		.amdhsa_float_round_mode_16_64 0
		.amdhsa_float_denorm_mode_32 3
		.amdhsa_float_denorm_mode_16_64 3
		.amdhsa_dx10_clamp 1
		.amdhsa_ieee_mode 1
		.amdhsa_fp16_overflow 0
		.amdhsa_exception_fp_ieee_invalid_op 0
		.amdhsa_exception_fp_denorm_src 0
		.amdhsa_exception_fp_ieee_div_zero 0
		.amdhsa_exception_fp_ieee_overflow 0
		.amdhsa_exception_fp_ieee_underflow 0
		.amdhsa_exception_fp_ieee_inexact 0
		.amdhsa_exception_int_div_zero 0
	.end_amdhsa_kernel
	.text
.Lfunc_end0:
	.size	bluestein_single_fwd_len500_dim1_sp_op_CI_CI, .Lfunc_end0-bluestein_single_fwd_len500_dim1_sp_op_CI_CI
                                        ; -- End function
	.section	.AMDGPU.csdata,"",@progbits
; Kernel info:
; codeLenInByte = 8172
; NumSgprs: 20
; NumVgprs: 63
; ScratchSize: 0
; MemoryBound: 0
; FloatMode: 240
; IeeeMode: 1
; LDSByteSize: 4000 bytes/workgroup (compile time only)
; SGPRBlocks: 2
; VGPRBlocks: 15
; NumSGPRsForWavesPerEU: 20
; NumVGPRsForWavesPerEU: 63
; Occupancy: 4
; WaveLimiterHint : 1
; COMPUTE_PGM_RSRC2:SCRATCH_EN: 0
; COMPUTE_PGM_RSRC2:USER_SGPR: 6
; COMPUTE_PGM_RSRC2:TRAP_HANDLER: 0
; COMPUTE_PGM_RSRC2:TGID_X_EN: 1
; COMPUTE_PGM_RSRC2:TGID_Y_EN: 0
; COMPUTE_PGM_RSRC2:TGID_Z_EN: 0
; COMPUTE_PGM_RSRC2:TIDIG_COMP_CNT: 0
	.type	__hip_cuid_293e514906b9f4b4,@object ; @__hip_cuid_293e514906b9f4b4
	.section	.bss,"aw",@nobits
	.globl	__hip_cuid_293e514906b9f4b4
__hip_cuid_293e514906b9f4b4:
	.byte	0                               ; 0x0
	.size	__hip_cuid_293e514906b9f4b4, 1

	.ident	"AMD clang version 19.0.0git (https://github.com/RadeonOpenCompute/llvm-project roc-6.4.0 25133 c7fe45cf4b819c5991fe208aaa96edf142730f1d)"
	.section	".note.GNU-stack","",@progbits
	.addrsig
	.addrsig_sym __hip_cuid_293e514906b9f4b4
	.amdgpu_metadata
---
amdhsa.kernels:
  - .args:
      - .actual_access:  read_only
        .address_space:  global
        .offset:         0
        .size:           8
        .value_kind:     global_buffer
      - .actual_access:  read_only
        .address_space:  global
        .offset:         8
        .size:           8
        .value_kind:     global_buffer
      - .actual_access:  read_only
        .address_space:  global
        .offset:         16
        .size:           8
        .value_kind:     global_buffer
      - .actual_access:  read_only
        .address_space:  global
        .offset:         24
        .size:           8
        .value_kind:     global_buffer
      - .actual_access:  read_only
        .address_space:  global
        .offset:         32
        .size:           8
        .value_kind:     global_buffer
      - .offset:         40
        .size:           8
        .value_kind:     by_value
      - .address_space:  global
        .offset:         48
        .size:           8
        .value_kind:     global_buffer
      - .address_space:  global
        .offset:         56
        .size:           8
        .value_kind:     global_buffer
      - .address_space:  global
        .offset:         64
        .size:           8
        .value_kind:     global_buffer
      - .address_space:  global
        .offset:         72
        .size:           8
        .value_kind:     global_buffer
      - .offset:         80
        .size:           4
        .value_kind:     by_value
      - .address_space:  global
        .offset:         88
        .size:           8
        .value_kind:     global_buffer
      - .address_space:  global
        .offset:         96
        .size:           8
        .value_kind:     global_buffer
    .group_segment_fixed_size: 4000
    .kernarg_segment_align: 8
    .kernarg_segment_size: 104
    .language:       OpenCL C
    .language_version:
      - 2
      - 0
    .max_flat_workgroup_size: 100
    .name:           bluestein_single_fwd_len500_dim1_sp_op_CI_CI
    .private_segment_fixed_size: 0
    .sgpr_count:     20
    .sgpr_spill_count: 0
    .symbol:         bluestein_single_fwd_len500_dim1_sp_op_CI_CI.kd
    .uniform_work_group_size: 1
    .uses_dynamic_stack: false
    .vgpr_count:     63
    .vgpr_spill_count: 0
    .wavefront_size: 64
amdhsa.target:   amdgcn-amd-amdhsa--gfx906
amdhsa.version:
  - 1
  - 2
...

	.end_amdgpu_metadata
